;; amdgpu-corpus repo=FlagOpen/FlagGems kind=triton arch=gfx950 opt=O3 lang=triton
	.amdgcn_target "amdgcn-amd-amdhsa--gfx950"
	.amdhsa_code_object_version 5
	.text
	.globl	layer_norm_persistent_kernel    ; -- Begin function layer_norm_persistent_kernel
	.p2align	8
	.type	layer_norm_persistent_kernel,@function
layer_norm_persistent_kernel:           ; @layer_norm_persistent_kernel
.Lfunc_begin0:
	.cfi_sections .debug_frame
	.cfi_startproc
; %bb.15:
	.file	1 "/root/src/amdgpu-assembly/repos/FlagOpen__FlagGems/triton_aot_kernels" "layernorm_aot.py"
	.loc	1 8 0 prologue_end              ; layernorm_aot.py:8:0
	s_load_dwordx2 s[2:3], s[0:1], 0x0
	s_load_dwordx8 s[4:11], s[0:1], 0x8
	s_load_dwordx4 s[12:15], s[0:1], 0x28
	s_waitcnt lgkmcnt(0)
	s_branch .LBB0_0
	.loc	1 0 0 is_stmt 0                 ; :0:0
.Ltmp0:
	.p2align	8
; %bb.16:
.LBB0_0:
.Ltmp1:
	.loc	1 36 33 is_stmt 1               ; layernorm_aot.py:36:33
	v_readfirstlane_b32 s14, v0
	s_mov_b64 s[28:29], s[6:7]
	.loc	1 24 29                         ; layernorm_aot.py:24:29
	v_and_b32_e32 v11, 63, v0
	s_and_b32 s6, s14, 0x1c0
	v_or_b32_e32 v1, s6, v11
	.loc	1 27 31                         ; layernorm_aot.py:27:31
	s_mul_i32 s6, s15, s16
	.loc	1 27 25 is_stmt 0               ; layernorm_aot.py:27:25
	s_ashr_i32 s7, s6, 31
	s_lshl_b64 s[26:27], s[6:7], 1
	s_add_u32 s20, s2, s26
	.loc	1 24 29 is_stmt 1               ; layernorm_aot.py:24:29
	v_or_b32_e32 v2, 0x200, v1
	.loc	1 27 25                         ; layernorm_aot.py:27:25
	s_addc_u32 s2, s3, s27
	.loc	1 24 29                         ; layernorm_aot.py:24:29
	v_or_b32_e32 v3, 0x400, v1
	v_or_b32_e32 v4, 0x600, v1
	.loc	1 27 46                         ; layernorm_aot.py:27:46
	s_and_b32 s21, s2, 0xffff
	v_lshlrev_b32_e32 v5, 1, v1
	v_bfrev_b32_e32 v6, 1
	.loc	1 25 23                         ; layernorm_aot.py:25:23
	v_cmp_gt_i32_e64 s[2:3], s15, v1
	.loc	1 27 46                         ; layernorm_aot.py:27:46
	v_lshlrev_b32_e32 v1, 1, v2
	.loc	1 25 23                         ; layernorm_aot.py:25:23
	v_cmp_gt_i32_e64 s[6:7], s15, v2
	.loc	1 27 46                         ; layernorm_aot.py:27:46
	v_cndmask_b32_e64 v8, v6, v5, s[2:3]
	.loc	1 25 23                         ; layernorm_aot.py:25:23
	v_cmp_gt_i32_e64 s[24:25], s15, v3
	.loc	1 27 46                         ; layernorm_aot.py:27:46
	v_cndmask_b32_e64 v5, v6, v1, s[6:7]
	v_lshlrev_b32_e32 v1, 1, v3
	s_mov_b32 s23, 0x27000
	s_mov_b32 s22, 0x7ffffffe
	v_cndmask_b32_e64 v9, v6, v1, s[24:25]
	v_lshlrev_b32_e32 v1, 1, v4
	.loc	1 25 23                         ; layernorm_aot.py:25:23
	v_cmp_gt_i32_e64 s[18:19], s15, v4
.Ltmp2:
	.file	2 "/root/.local/lib/python3.13/site-packages/triton/language" "standard.py"
	.loc	2 293 36                        ; standard.py:293:36 @[ layernorm_aot.py:28:15 ]
	s_lshr_b32 s17, s14, 4
	s_and_b32 s17, s17, 28
.Ltmp3:
	.loc	1 27 46                         ; layernorm_aot.py:27:46
	v_cndmask_b32_e64 v10, v6, v1, s[18:19]
	buffer_load_ushort v1, v5, s[20:23], 0 offen
	buffer_load_ushort v2, v8, s[20:23], 0 offen
	;; [unrolled: 1-line block ×4, first 2 shown]
.Ltmp4:
	.loc	2 293 36                        ; standard.py:293:36 @[ layernorm_aot.py:28:15 ]
	v_cmp_eq_u32_e64 s[20:21], 0, v11
	s_add_i32 s17, s17, 0
.Ltmp5:
	.loc	1 27 66                         ; layernorm_aot.py:27:66
	s_waitcnt vmcnt(3)
	v_cvt_f32_f16_e32 v3, v1
	s_waitcnt vmcnt(2)
	v_cvt_f32_f16_e32 v2, v2
	s_waitcnt vmcnt(1)
	v_cvt_f32_f16_e32 v6, v4
	s_waitcnt vmcnt(0)
	v_cvt_f32_f16_e32 v7, v7
.Ltmp6:
	.loc	2 263 15                        ; standard.py:263:15 @[ standard.py:293:36 @[ layernorm_aot.py:28:15 ] ]
	v_add_f32_e32 v1, v3, v2
	v_add_f32_e32 v1, v1, v6
	;; [unrolled: 1-line block ×3, first 2 shown]
	s_nop 1
	v_add_f32_dpp v1, v1, v1 row_shr:8 row_mask:0xf bank_mask:0xf bound_ctrl:1
	s_nop 1
	v_add_f32_dpp v1, v1, v1 row_shr:4 row_mask:0xf bank_mask:0xf bound_ctrl:1
	;; [unrolled: 2-line block ×4, first 2 shown]
.Ltmp7:
	.loc	2 293 36                        ; standard.py:293:36 @[ layernorm_aot.py:28:15 ]
	v_mov_b32_e32 v4, v1
	s_nop 1
	v_mov_b32_dpp v4, v4 row_bcast:15 row_mask:0xa bank_mask:0xf bound_ctrl:1
.Ltmp8:
	.loc	2 263 15                        ; standard.py:263:15 @[ standard.py:293:36 @[ layernorm_aot.py:28:15 ] ]
	v_add_f32_e32 v1, v4, v1
	s_nop 1
	v_add_f32_dpp v1, v1, v1 row_bcast:31 row_mask:0xf bank_mask:0xf bound_ctrl:1
.Ltmp9:
	.loc	2 293 36                        ; standard.py:293:36 @[ layernorm_aot.py:28:15 ]
	s_nop 0
	v_readlane_b32 s30, v1, 63
	s_and_saveexec_b64 s[22:23], s[20:21]
; %bb.1:
	v_mov_b32_e32 v1, s17
	v_mov_b32_e32 v4, s30
	ds_write_b32 v1, v4
; %bb.2:
	.loc	2 0 36 is_stmt 0                ; standard.py:0:36
	s_or_b64 exec, exec, s[22:23]
	.loc	2 293 36                        ; standard.py:293:36 @[ layernorm_aot.py:28:15 ]
	v_cmp_gt_u32_e64 s[22:23], 8, v0
	v_lshl_add_u32 v12, v0, 2, 0
.Ltmp10:
	.loc	1 28 15 is_stmt 1               ; layernorm_aot.py:28:15
	v_mov_b32_e32 v1, 0
.Ltmp11:
	.loc	2 293 36                        ; standard.py:293:36 @[ layernorm_aot.py:28:15 ]
	s_waitcnt lgkmcnt(0)
	s_barrier
	s_and_saveexec_b64 s[30:31], s[22:23]
; %bb.3:
	ds_read_b32 v1, v12
; %bb.4:
	.loc	2 0 36 is_stmt 0                ; standard.py:0:36
	s_or_b64 exec, exec, s[30:31]
	.loc	2 293 36                        ; standard.py:293:36 @[ layernorm_aot.py:28:15 ]
	s_waitcnt lgkmcnt(0)
	v_mov_b32_e32 v4, v1
	v_and_b32_e32 v0, 7, v0
	v_cmp_eq_u32_e32 vcc, 0, v0
	v_mov_b32_dpp v4, v4 row_shr:4 row_mask:0xf bank_mask:0xa
	s_and_b64 s[30:31], s[22:23], vcc
	s_nop 0
	v_mov_b32_dpp v4, v1 row_shl:4 row_mask:0xf bank_mask:0x5
.Ltmp12:
	.loc	2 263 15 is_stmt 1              ; standard.py:263:15 @[ standard.py:293:36 @[ layernorm_aot.py:28:15 ] ]
	v_add_f32_e32 v1, v1, v4
.Ltmp13:
	.loc	2 293 36                        ; standard.py:293:36 @[ layernorm_aot.py:28:15 ]
	v_mov_b32_e32 v4, v1
	s_nop 1
	v_mov_b32_dpp v4, v4 quad_perm:[2,3,0,1] row_mask:0xf bank_mask:0xf
.Ltmp14:
	.loc	2 263 15                        ; standard.py:263:15 @[ standard.py:293:36 @[ layernorm_aot.py:28:15 ] ]
	v_add_f32_e32 v1, v1, v4
.Ltmp15:
	.loc	2 293 36                        ; standard.py:293:36 @[ layernorm_aot.py:28:15 ]
	v_mov_b32_e32 v4, v1
	s_nop 1
	v_mov_b32_dpp v4, v4 quad_perm:[1,0,3,2] row_mask:0xf bank_mask:0xf
	s_and_saveexec_b64 s[34:35], s[30:31]
; %bb.5:
	.loc	2 0 36 is_stmt 0                ; standard.py:0:36
	v_add_f32_e32 v0, v1, v4
	.loc	2 293 36                        ; standard.py:293:36 @[ layernorm_aot.py:28:15 ]
	ds_write_b32 v12, v0
; %bb.6:
	.loc	2 0 36                          ; standard.py:0:36
	s_or_b64 exec, exec, s[34:35]
	.loc	2 293 36                        ; standard.py:293:36 @[ layernorm_aot.py:28:15 ]
	v_mov_b32_e32 v0, 0
	s_waitcnt lgkmcnt(0)
	s_barrier
	ds_read_b32 v0, v0
.Ltmp16:
	.loc	1 28 20 is_stmt 1               ; layernorm_aot.py:28:20
	v_cvt_f32_i32_e32 v13, s15
.Ltmp17:
	.loc	2 293 36                        ; standard.py:293:36 @[ layernorm_aot.py:31:24 ]
	s_waitcnt lgkmcnt(0)
	s_barrier
.Ltmp18:
	.loc	1 28 20                         ; layernorm_aot.py:28:20
	v_div_scale_f32 v1, s[34:35], v13, v13, v0
	v_rcp_f32_e32 v4, v1
	v_div_scale_f32 v14, vcc, v0, v13, v0
	v_fma_f32 v15, -v1, v4, 1.0
	v_fmac_f32_e32 v4, v15, v4
	v_mul_f32_e32 v15, v14, v4
	v_fma_f32 v16, -v1, v15, v14
	v_fmac_f32_e32 v15, v16, v4
	v_fma_f32 v1, -v1, v15, v14
	v_div_fmas_f32 v1, v1, v4, v15
	v_div_fixup_f32 v4, v1, v13, v0
	.loc	1 29 12                         ; layernorm_aot.py:29:12
	v_pk_add_f32 v[0:1], v[2:3], v[4:5] op_sel_hi:[1,0] neg_lo:[0,1] neg_hi:[0,1]
	v_pk_add_f32 v[2:3], v[6:7], v[4:5] op_sel_hi:[1,0] neg_lo:[0,1] neg_hi:[0,1]
	.loc	1 30 27                         ; layernorm_aot.py:30:27
	v_pk_mul_f32 v[6:7], v[0:1], v[0:1]
	v_pk_mul_f32 v[14:15], v[2:3], v[2:3]
	.loc	1 30 30 is_stmt 0               ; layernorm_aot.py:30:30
	v_cndmask_b32_e64 v6, 0, v6, s[2:3]
	v_cndmask_b32_e64 v7, 0, v7, s[6:7]
	;; [unrolled: 1-line block ×3, first 2 shown]
.Ltmp19:
	.loc	2 263 15 is_stmt 1              ; standard.py:263:15 @[ standard.py:293:36 @[ layernorm_aot.py:31:24 ] ]
	v_add_f32_e32 v6, v6, v7
.Ltmp20:
	.loc	1 30 30                         ; layernorm_aot.py:30:30
	v_cndmask_b32_e64 v15, 0, v15, s[18:19]
.Ltmp21:
	.loc	2 263 15                        ; standard.py:263:15 @[ standard.py:293:36 @[ layernorm_aot.py:31:24 ] ]
	v_add_f32_e32 v6, v14, v6
	v_add_f32_e32 v6, v15, v6
	s_nop 1
	v_add_f32_dpp v6, v6, v6 row_shr:8 row_mask:0xf bank_mask:0xf bound_ctrl:1
	s_nop 1
	v_add_f32_dpp v6, v6, v6 row_shr:4 row_mask:0xf bank_mask:0xf bound_ctrl:1
	;; [unrolled: 2-line block ×4, first 2 shown]
.Ltmp22:
	.loc	2 293 36                        ; standard.py:293:36 @[ layernorm_aot.py:31:24 ]
	v_mov_b32_e32 v7, v6
	s_nop 1
	v_mov_b32_dpp v7, v7 row_bcast:15 row_mask:0xa bank_mask:0xf bound_ctrl:1
.Ltmp23:
	.loc	2 263 15                        ; standard.py:263:15 @[ standard.py:293:36 @[ layernorm_aot.py:31:24 ] ]
	v_add_f32_e32 v6, v7, v6
	s_nop 1
	v_add_f32_dpp v6, v6, v6 row_bcast:31 row_mask:0xf bank_mask:0xf bound_ctrl:1
.Ltmp24:
	.loc	2 293 36                        ; standard.py:293:36 @[ layernorm_aot.py:31:24 ]
	s_nop 0
	v_readlane_b32 s6, v6, 63
	s_and_saveexec_b64 s[2:3], s[20:21]
; %bb.7:
	v_mov_b32_e32 v6, s17
	v_mov_b32_e32 v7, s6
	ds_write_b32 v6, v7
.Ltmp25:
; %bb.8:
	.loc	2 0 36 is_stmt 0                ; standard.py:0:36
	s_or_b64 exec, exec, s[2:3]
	.loc	1 31 24 is_stmt 1               ; layernorm_aot.py:31:24
	v_mov_b32_e32 v6, 0
.Ltmp26:
	.loc	2 293 36                        ; standard.py:293:36 @[ layernorm_aot.py:31:24 ]
	s_waitcnt lgkmcnt(0)
	s_barrier
	s_and_saveexec_b64 s[2:3], s[22:23]
; %bb.9:
	ds_read_b32 v6, v12
; %bb.10:
	.loc	2 0 36 is_stmt 0                ; standard.py:0:36
	s_or_b64 exec, exec, s[2:3]
	.loc	2 293 36                        ; standard.py:293:36 @[ layernorm_aot.py:31:24 ]
	s_waitcnt lgkmcnt(0)
	v_mov_b32_e32 v7, v6
	s_load_dword s3, s[0:1], 0x38
.Ltmp27:
	.loc	1 0 0                           ; layernorm_aot.py:0
	s_lshr_b32 s2, s14, 6
.Ltmp28:
	.loc	2 293 36                        ; standard.py:293:36 @[ layernorm_aot.py:31:24 ]
	v_mov_b32_dpp v7, v7 row_shr:4 row_mask:0xf bank_mask:0xa
	s_nop 1
	v_mov_b32_dpp v7, v6 row_shl:4 row_mask:0xf bank_mask:0x5
.Ltmp29:
	.loc	2 263 15 is_stmt 1              ; standard.py:263:15 @[ standard.py:293:36 @[ layernorm_aot.py:31:24 ] ]
	v_add_f32_e32 v6, v6, v7
.Ltmp30:
	.loc	2 293 36                        ; standard.py:293:36 @[ layernorm_aot.py:31:24 ]
	v_mov_b32_e32 v7, v6
	s_nop 1
	v_mov_b32_dpp v7, v7 quad_perm:[2,3,0,1] row_mask:0xf bank_mask:0xf
.Ltmp31:
	.loc	2 263 15                        ; standard.py:263:15 @[ standard.py:293:36 @[ layernorm_aot.py:31:24 ] ]
	v_add_f32_e32 v6, v6, v7
.Ltmp32:
	.loc	2 293 36                        ; standard.py:293:36 @[ layernorm_aot.py:31:24 ]
	v_mov_b32_e32 v7, v6
	s_nop 1
	v_mov_b32_dpp v7, v7 quad_perm:[1,0,3,2] row_mask:0xf bank_mask:0xf
	s_and_saveexec_b64 s[0:1], s[30:31]
; %bb.11:
	.loc	2 0 36 is_stmt 0                ; standard.py:0:36
	v_add_f32_e32 v6, v6, v7
	.loc	2 293 36                        ; standard.py:293:36 @[ layernorm_aot.py:31:24 ]
	ds_write_b32 v12, v6
; %bb.12:
	.loc	2 0 36                          ; standard.py:0:36
	s_or_b64 exec, exec, s[0:1]
	.loc	2 293 36                        ; standard.py:293:36 @[ layernorm_aot.py:31:24 ]
	v_mov_b32_e32 v7, 0
	s_waitcnt lgkmcnt(0)
	s_barrier
	ds_read_b32 v6, v7
.Ltmp33:
	.loc	1 35 33 is_stmt 1               ; layernorm_aot.py:35:33
	v_or_b32_e32 v11, s2, v11
	.loc	1 32 23                         ; layernorm_aot.py:32:23
	s_waitcnt lgkmcnt(0)
	v_div_scale_f32 v12, s[0:1], v13, v13, v6
	v_rcp_f32_e32 v14, v12
	v_div_scale_f32 v15, vcc, v6, v13, v6
	v_fma_f32 v16, -v12, v14, 1.0
	v_fmac_f32_e32 v14, v16, v14
	v_mul_f32_e32 v16, v15, v14
	v_fma_f32 v17, -v12, v16, v15
	v_fmac_f32_e32 v16, v17, v14
	v_fma_f32 v12, -v12, v16, v15
	v_div_fmas_f32 v12, v12, v14, v16
	v_div_fixup_f32 v6, v12, v13, v6
	.loc	1 33 31                         ; layernorm_aot.py:33:31
	v_add_f32_e32 v6, s3, v6
	.loc	1 33 25 is_stmt 0               ; layernorm_aot.py:33:25
	v_rsq_f32_e32 v6, v6
	.loc	1 35 33 is_stmt 1               ; layernorm_aot.py:35:33
	v_cmp_eq_u32_e32 vcc, 0, v11
	s_and_saveexec_b64 s[0:1], vcc
	s_cbranch_execz .LBB0_14
; %bb.13:
	.loc	1 0 33 is_stmt 0                ; layernorm_aot.py:0:33
	s_ashr_i32 s17, s16, 31
	s_lshl_b64 s[2:3], s[16:17], 2
	s_add_u32 s6, s12, s2
	s_addc_u32 s7, s13, s3
	s_add_u32 s2, s10, s2
	s_addc_u32 s3, s11, s3
	.loc	1 35 33                         ; layernorm_aot.py:35:33
	global_store_dword v7, v4, s[2:3]
	.loc	1 36 33 is_stmt 1               ; layernorm_aot.py:36:33
	global_store_dword v7, v6, s[6:7]
.LBB0_14:                               ; %.critedge
	.loc	1 0 33 is_stmt 0                ; layernorm_aot.py:0:33
	s_or_b64 exec, exec, s[0:1]
	s_mov_b32 s31, 0x27000
	s_mov_b32 s30, 0x7ffffffe
	.loc	1 41 20 is_stmt 1               ; layernorm_aot.py:41:20
	s_and_b32 s29, s29, 0xffff
	.loc	1 45 20                         ; layernorm_aot.py:45:20
	s_and_b32 s9, s9, 0xffff
	s_mov_b32 s10, s30
	s_mov_b32 s11, s31
	.loc	1 41 20                         ; layernorm_aot.py:41:20
	buffer_load_ushort v4, v8, s[28:31], 0 offen
	buffer_load_ushort v7, v5, s[28:31], 0 offen
	;; [unrolled: 1-line block ×4, first 2 shown]
	.loc	1 45 20                         ; layernorm_aot.py:45:20
	buffer_load_ushort v14, v5, s[8:11], 0 offen
	buffer_load_ushort v16, v8, s[8:11], 0 offen
	;; [unrolled: 1-line block ×4, first 2 shown]
	.loc	1 48 23                         ; layernorm_aot.py:48:23
	s_add_u32 s28, s4, s26
	s_addc_u32 s0, s5, s27
	.loc	1 48 44 is_stmt 0               ; layernorm_aot.py:48:44
	s_and_b32 s29, s0, 0xffff
	.loc	1 46 20 is_stmt 1               ; layernorm_aot.py:46:20
	s_waitcnt vmcnt(6)
	v_pk_mul_f32 v[0:1], v[0:1], v[6:7] op_sel_hi:[1,0]
	v_pk_mul_f32 v[2:3], v[2:3], v[6:7] op_sel_hi:[1,0]
	.loc	1 46 27 is_stmt 0               ; layernorm_aot.py:46:27
	v_cvt_f32_f16_e32 v7, v7
	v_cvt_f32_f16_e32 v6, v4
	.loc	1 46 31                         ; layernorm_aot.py:46:31
	s_waitcnt vmcnt(3)
	v_cvt_f32_f16_e32 v15, v14
	s_waitcnt vmcnt(2)
	v_cvt_f32_f16_e32 v14, v16
	.loc	1 46 27                         ; layernorm_aot.py:46:27
	v_cvt_f32_f16_e32 v13, v12
	v_cvt_f32_f16_e32 v12, v11
	.loc	1 46 31                         ; layernorm_aot.py:46:31
	s_waitcnt vmcnt(1)
	v_cvt_f32_f16_e32 v17, v17
	s_waitcnt vmcnt(0)
	v_cvt_f32_f16_e32 v16, v18
	v_pk_fma_f32 v[0:1], v[0:1], v[6:7], v[14:15]
	v_pk_fma_f32 v[2:3], v[2:3], v[12:13], v[16:17]
	.loc	1 48 44 is_stmt 1               ; layernorm_aot.py:48:44
	v_cvt_pk_f16_f32 v0, v0, v1
	v_cvt_pk_f16_f32 v1, v2, v3
	buffer_store_short v0, v8, s[28:31], 0 offen
	v_lshrrev_b32_e32 v0, 16, v0
	v_lshrrev_b32_e32 v2, 16, v1
	buffer_store_short v0, v5, s[28:31], 0 offen
	buffer_store_short v1, v9, s[28:31], 0 offen
	;; [unrolled: 1-line block ×3, first 2 shown]
	.loc	1 48 4 is_stmt 0                ; layernorm_aot.py:48:4
	s_endpgm
.Ltmp34:
	.section	.rodata,"a",@progbits
	.p2align	6, 0x0
	.amdhsa_kernel layer_norm_persistent_kernel
		.amdhsa_group_segment_fixed_size 0
		.amdhsa_private_segment_fixed_size 0
		.amdhsa_kernarg_size 80
		.amdhsa_user_sgpr_count 16
		.amdhsa_user_sgpr_dispatch_ptr 0
		.amdhsa_user_sgpr_queue_ptr 0
		.amdhsa_user_sgpr_kernarg_segment_ptr 1
		.amdhsa_user_sgpr_dispatch_id 0
		.amdhsa_user_sgpr_kernarg_preload_length 14
		.amdhsa_user_sgpr_kernarg_preload_offset 0
		.amdhsa_user_sgpr_private_segment_size 0
		.amdhsa_uses_dynamic_stack 0
		.amdhsa_enable_private_segment 0
		.amdhsa_system_sgpr_workgroup_id_x 1
		.amdhsa_system_sgpr_workgroup_id_y 0
		.amdhsa_system_sgpr_workgroup_id_z 0
		.amdhsa_system_sgpr_workgroup_info 0
		.amdhsa_system_vgpr_workitem_id 0
		.amdhsa_next_free_vgpr 19
		.amdhsa_next_free_sgpr 36
		.amdhsa_accum_offset 20
		.amdhsa_reserve_vcc 1
		.amdhsa_reserve_xnack_mask 1
		.amdhsa_float_round_mode_32 0
		.amdhsa_float_round_mode_16_64 0
		.amdhsa_float_denorm_mode_32 3
		.amdhsa_float_denorm_mode_16_64 3
		.amdhsa_dx10_clamp 1
		.amdhsa_ieee_mode 1
		.amdhsa_fp16_overflow 0
		.amdhsa_tg_split 0
		.amdhsa_exception_fp_ieee_invalid_op 0
		.amdhsa_exception_fp_denorm_src 0
		.amdhsa_exception_fp_ieee_div_zero 0
		.amdhsa_exception_fp_ieee_overflow 0
		.amdhsa_exception_fp_ieee_underflow 0
		.amdhsa_exception_fp_ieee_inexact 0
		.amdhsa_exception_int_div_zero 0
	.end_amdhsa_kernel
	.text
.Lfunc_end0:
	.size	layer_norm_persistent_kernel, .Lfunc_end0-layer_norm_persistent_kernel
	.cfi_endproc
                                        ; -- End function
	.set layer_norm_persistent_kernel.num_vgpr, 19
	.set layer_norm_persistent_kernel.num_agpr, 0
	.set layer_norm_persistent_kernel.numbered_sgpr, 36
	.set layer_norm_persistent_kernel.num_named_barrier, 0
	.set layer_norm_persistent_kernel.private_seg_size, 0
	.set layer_norm_persistent_kernel.uses_vcc, 1
	.set layer_norm_persistent_kernel.uses_flat_scratch, 0
	.set layer_norm_persistent_kernel.has_dyn_sized_stack, 0
	.set layer_norm_persistent_kernel.has_recursion, 0
	.set layer_norm_persistent_kernel.has_indirect_call, 0
	.section	.AMDGPU.csdata,"",@progbits
; Kernel info:
; codeLenInByte = 1640
; TotalNumSgprs: 42
; NumVgprs: 19
; NumAgprs: 0
; TotalNumVgprs: 19
; ScratchSize: 0
; MemoryBound: 0
; FloatMode: 240
; IeeeMode: 1
; LDSByteSize: 0 bytes/workgroup (compile time only)
; SGPRBlocks: 5
; VGPRBlocks: 2
; NumSGPRsForWavesPerEU: 42
; NumVGPRsForWavesPerEU: 19
; AccumOffset: 20
; Occupancy: 8
; WaveLimiterHint : 0
; COMPUTE_PGM_RSRC2:SCRATCH_EN: 0
; COMPUTE_PGM_RSRC2:USER_SGPR: 16
; COMPUTE_PGM_RSRC2:TRAP_HANDLER: 0
; COMPUTE_PGM_RSRC2:TGID_X_EN: 1
; COMPUTE_PGM_RSRC2:TGID_Y_EN: 0
; COMPUTE_PGM_RSRC2:TGID_Z_EN: 0
; COMPUTE_PGM_RSRC2:TIDIG_COMP_CNT: 0
; COMPUTE_PGM_RSRC3_GFX90A:ACCUM_OFFSET: 4
; COMPUTE_PGM_RSRC3_GFX90A:TG_SPLIT: 0
	.text
	.p2alignl 6, 3212836864
	.fill 256, 4, 3212836864
	.section	.AMDGPU.gpr_maximums,"",@progbits
	.set amdgpu.max_num_vgpr, 0
	.set amdgpu.max_num_agpr, 0
	.set amdgpu.max_num_sgpr, 0
	.set amdgpu.max_num_named_barrier, 0
	.text
	.section	.debug_abbrev,"",@progbits
	.byte	1                               ; Abbreviation Code
	.byte	17                              ; DW_TAG_compile_unit
	.byte	1                               ; DW_CHILDREN_yes
	.byte	37                              ; DW_AT_producer
	.byte	14                              ; DW_FORM_strp
	.byte	19                              ; DW_AT_language
	.byte	5                               ; DW_FORM_data2
	.byte	3                               ; DW_AT_name
	.byte	14                              ; DW_FORM_strp
	.byte	16                              ; DW_AT_stmt_list
	.byte	23                              ; DW_FORM_sec_offset
	.byte	27                              ; DW_AT_comp_dir
	.byte	14                              ; DW_FORM_strp
	.byte	17                              ; DW_AT_low_pc
	.byte	1                               ; DW_FORM_addr
	.byte	18                              ; DW_AT_high_pc
	.byte	6                               ; DW_FORM_data4
	.byte	0                               ; EOM(1)
	.byte	0                               ; EOM(2)
	.byte	2                               ; Abbreviation Code
	.byte	46                              ; DW_TAG_subprogram
	.byte	0                               ; DW_CHILDREN_no
	.byte	3                               ; DW_AT_name
	.byte	14                              ; DW_FORM_strp
	.byte	32                              ; DW_AT_inline
	.byte	11                              ; DW_FORM_data1
	.byte	0                               ; EOM(1)
	.byte	0                               ; EOM(2)
	.byte	3                               ; Abbreviation Code
	.byte	46                              ; DW_TAG_subprogram
	.byte	1                               ; DW_CHILDREN_yes
	.byte	17                              ; DW_AT_low_pc
	.byte	1                               ; DW_FORM_addr
	.byte	18                              ; DW_AT_high_pc
	.byte	6                               ; DW_FORM_data4
	.byte	49                              ; DW_AT_abstract_origin
	.byte	19                              ; DW_FORM_ref4
	.byte	0                               ; EOM(1)
	.byte	0                               ; EOM(2)
	.byte	4                               ; Abbreviation Code
	.byte	29                              ; DW_TAG_inlined_subroutine
	.byte	1                               ; DW_CHILDREN_yes
	.byte	49                              ; DW_AT_abstract_origin
	.byte	19                              ; DW_FORM_ref4
	.byte	85                              ; DW_AT_ranges
	.byte	23                              ; DW_FORM_sec_offset
	.byte	88                              ; DW_AT_call_file
	.byte	11                              ; DW_FORM_data1
	.byte	89                              ; DW_AT_call_line
	.byte	11                              ; DW_FORM_data1
	.byte	87                              ; DW_AT_call_column
	.byte	11                              ; DW_FORM_data1
	.byte	0                               ; EOM(1)
	.byte	0                               ; EOM(2)
	.byte	5                               ; Abbreviation Code
	.byte	29                              ; DW_TAG_inlined_subroutine
	.byte	0                               ; DW_CHILDREN_no
	.byte	49                              ; DW_AT_abstract_origin
	.byte	19                              ; DW_FORM_ref4
	.byte	85                              ; DW_AT_ranges
	.byte	23                              ; DW_FORM_sec_offset
	.byte	88                              ; DW_AT_call_file
	.byte	11                              ; DW_FORM_data1
	.byte	89                              ; DW_AT_call_line
	.byte	5                               ; DW_FORM_data2
	.byte	87                              ; DW_AT_call_column
	.byte	11                              ; DW_FORM_data1
	.byte	0                               ; EOM(1)
	.byte	0                               ; EOM(2)
	;; [unrolled: 1-line block ×3, first 2 shown]
	.section	.debug_info,"",@progbits
.Lcu_begin0:
	.long	.Ldebug_info_end0-.Ldebug_info_start0 ; Length of Unit
.Ldebug_info_start0:
	.short	4                               ; DWARF version number
	.long	.debug_abbrev                   ; Offset Into Abbrev. Section
	.byte	8                               ; Address Size (in bytes)
	.byte	1                               ; Abbrev [1] 0xb:0x6c DW_TAG_compile_unit
	.long	.Linfo_string0                  ; DW_AT_producer
	.short	2                               ; DW_AT_language
	.long	.Linfo_string1                  ; DW_AT_name
	.long	.Lline_table_start0             ; DW_AT_stmt_list
	.long	.Linfo_string2                  ; DW_AT_comp_dir
	.quad	.Lfunc_begin0                   ; DW_AT_low_pc
	.long	.Lfunc_end0-.Lfunc_begin0       ; DW_AT_high_pc
	.byte	2                               ; Abbrev [2] 0x2a:0x6 DW_TAG_subprogram
	.long	.Linfo_string3                  ; DW_AT_name
	.byte	1                               ; DW_AT_inline
	.byte	3                               ; Abbrev [3] 0x30:0x46 DW_TAG_subprogram
	.quad	.Lfunc_begin0                   ; DW_AT_low_pc
	.long	.Lfunc_end0-.Lfunc_begin0       ; DW_AT_high_pc
	.long	42                              ; DW_AT_abstract_origin
	.byte	4                               ; Abbrev [4] 0x41:0x1a DW_TAG_inlined_subroutine
	.long	42                              ; DW_AT_abstract_origin
	.long	.Ldebug_ranges0                 ; DW_AT_ranges
	.byte	1                               ; DW_AT_call_file
	.byte	28                              ; DW_AT_call_line
	.byte	15                              ; DW_AT_call_column
	.byte	5                               ; Abbrev [5] 0x4d:0xd DW_TAG_inlined_subroutine
	.long	42                              ; DW_AT_abstract_origin
	.long	.Ldebug_ranges1                 ; DW_AT_ranges
	.byte	2                               ; DW_AT_call_file
	.short	293                             ; DW_AT_call_line
	.byte	36                              ; DW_AT_call_column
	.byte	0                               ; End Of Children Mark
	.byte	4                               ; Abbrev [4] 0x5b:0x1a DW_TAG_inlined_subroutine
	.long	42                              ; DW_AT_abstract_origin
	.long	.Ldebug_ranges2                 ; DW_AT_ranges
	.byte	1                               ; DW_AT_call_file
	.byte	31                              ; DW_AT_call_line
	.byte	24                              ; DW_AT_call_column
	.byte	5                               ; Abbrev [5] 0x67:0xd DW_TAG_inlined_subroutine
	.long	42                              ; DW_AT_abstract_origin
	.long	.Ldebug_ranges3                 ; DW_AT_ranges
	.byte	2                               ; DW_AT_call_file
	.short	293                             ; DW_AT_call_line
	.byte	36                              ; DW_AT_call_column
	.byte	0                               ; End Of Children Mark
	.byte	0                               ; End Of Children Mark
	;; [unrolled: 1-line block ×3, first 2 shown]
.Ldebug_info_end0:
	.section	.debug_ranges,"",@progbits
.Ldebug_ranges0:
	.quad	.Ltmp2-.Lfunc_begin0
	.quad	.Ltmp3-.Lfunc_begin0
	.quad	.Ltmp4-.Lfunc_begin0
	.quad	.Ltmp5-.Lfunc_begin0
	.quad	.Ltmp6-.Lfunc_begin0
	.quad	.Ltmp10-.Lfunc_begin0
	.quad	.Ltmp11-.Lfunc_begin0
	.quad	.Ltmp16-.Lfunc_begin0
	.quad	0
	.quad	0
.Ldebug_ranges1:
	.quad	.Ltmp6-.Lfunc_begin0
	.quad	.Ltmp7-.Lfunc_begin0
	;; [unrolled: 1-line block ×8, first 2 shown]
	.quad	0
	.quad	0
.Ldebug_ranges2:
	.quad	.Ltmp17-.Lfunc_begin0
	.quad	.Ltmp18-.Lfunc_begin0
	;; [unrolled: 1-line block ×10, first 2 shown]
	.quad	0
	.quad	0
.Ldebug_ranges3:
	.quad	.Ltmp19-.Lfunc_begin0
	.quad	.Ltmp20-.Lfunc_begin0
	;; [unrolled: 1-line block ×10, first 2 shown]
	.quad	0
	.quad	0
	.section	.debug_str,"MS",@progbits,1
.Linfo_string0:
	.asciz	"triton"                        ; string offset=0
.Linfo_string1:
	.asciz	"layernorm_aot.py"              ; string offset=7
.Linfo_string2:
	.asciz	"/root/src/amdgpu-assembly/repos/FlagOpen__FlagGems/triton_aot_kernels" ; string offset=24
.Linfo_string3:
	.asciz	"layer_norm_persistent_kernel"  ; string offset=94
	.section	".note.GNU-stack","",@progbits
	.amdgpu_metadata
---
amdhsa.kernels:
  - .agpr_count:     0
    .args:
      - .address_space:  global
        .offset:         0
        .size:           8
        .value_kind:     global_buffer
      - .address_space:  global
        .offset:         8
        .size:           8
        .value_kind:     global_buffer
      - .address_space:  global
        .offset:         16
        .size:           8
        .value_kind:     global_buffer
      - .address_space:  global
        .offset:         24
        .size:           8
        .value_kind:     global_buffer
      - .address_space:  global
        .offset:         32
        .size:           8
        .value_kind:     global_buffer
      - .address_space:  global
        .offset:         40
        .size:           8
        .value_kind:     global_buffer
      - .offset:         48
        .size:           4
        .value_kind:     by_value
      - .offset:         52
        .size:           4
        .value_kind:     by_value
      - .offset:         56
        .size:           4
        .value_kind:     by_value
      - .address_space:  global
        .offset:         64
        .size:           8
        .value_kind:     global_buffer
      - .address_space:  global
        .offset:         72
        .size:           8
        .value_kind:     global_buffer
    .group_segment_fixed_size: 0
    .kernarg_segment_align: 8
    .kernarg_segment_size: 80
    .max_flat_workgroup_size: 512
    .name:           layer_norm_persistent_kernel
    .private_segment_fixed_size: 0
    .sgpr_count:     42
    .sgpr_spill_count: 0
    .symbol:         layer_norm_persistent_kernel.kd
    .uniform_work_group_size: 1
    .uses_dynamic_stack: false
    .vgpr_count:     19
    .vgpr_spill_count: 0
    .wavefront_size: 64
amdhsa.target:   amdgcn-amd-amdhsa--gfx950
amdhsa.version:
  - 1
  - 2
...

	.end_amdgpu_metadata
	.section	.debug_line,"",@progbits
.Lline_table_start0:
